;; amdgpu-corpus repo=ROCm/rocm-libraries kind=compiled arch=gfx90a opt=O3
	.text
	.amdgcn_target "amdgcn-amd-amdhsa--gfx90a"
	.amdhsa_code_object_version 6
	.protected	miopen_conv3d_depthwise_fwd ; -- Begin function miopen_conv3d_depthwise_fwd
	.globl	miopen_conv3d_depthwise_fwd
	.p2align	8
	.type	miopen_conv3d_depthwise_fwd,@function
miopen_conv3d_depthwise_fwd:            ; @miopen_conv3d_depthwise_fwd
; %bb.0:
	s_load_dwordx8 s[12:19], s[4:5], 0x20
	s_mov_b32 s28, s7
	s_waitcnt lgkmcnt(0)
	s_abs_i32 s0, s12
	v_cvt_f32_u32_e32 v1, s0
	s_sub_i32 s3, 0, s0
	s_abs_i32 s2, s16
	s_xor_b32 s1, s16, s12
	v_rcp_iflag_f32_e32 v1, v1
	s_ashr_i32 s1, s1, 31
	v_mul_f32_e32 v1, 0x4f7ffffe, v1
	v_cvt_u32_f32_e32 v1, v1
	v_readfirstlane_b32 s7, v1
	s_mul_i32 s3, s3, s7
	s_mul_hi_u32 s3, s7, s3
	s_add_i32 s7, s7, s3
	s_mul_hi_u32 s3, s2, s7
	s_mul_i32 s7, s3, s0
	s_sub_i32 s2, s2, s7
	s_add_i32 s9, s3, 1
	s_sub_i32 s7, s2, s0
	s_cmp_ge_u32 s2, s0
	s_cselect_b32 s3, s9, s3
	s_cselect_b32 s2, s7, s2
	s_add_i32 s7, s3, 1
	s_cmp_ge_u32 s2, s0
	s_cselect_b32 s0, s7, s3
	s_xor_b32 s0, s0, s1
	s_sub_i32 s30, s0, s1
	s_abs_i32 s7, s30
	v_cvt_f32_u32_e32 v1, s7
	s_load_dword s0, s[4:5], 0x4c
	s_sub_i32 s1, 0, s7
	s_abs_i32 s9, s28
	v_rcp_iflag_f32_e32 v1, v1
	v_mul_f32_e32 v1, 0x4f7ffffe, v1
	v_cvt_u32_f32_e32 v1, v1
	v_readfirstlane_b32 s31, v1
	s_mul_i32 s1, s1, s31
	s_mul_hi_u32 s1, s31, s1
	s_add_i32 s31, s31, s1
	s_add_u32 s10, s4, 64
	s_addc_u32 s11, s5, 0
	s_waitcnt lgkmcnt(0)
	s_and_b32 s29, s0, 0xffff
	v_cvt_f32_u32_e32 v1, s29
	s_movk_i32 s0, 0x303c
	v_add_u32_e32 v2, s29, v0
	v_mov_b32_e32 v3, s29
	v_rcp_iflag_f32_e32 v1, v1
	v_cmp_gt_u32_e32 vcc, s0, v2
	s_cmp_eq_u32 s29, 1
	v_max_u32_e32 v4, 0x303c, v2
	v_mul_f32_e32 v1, 0x4f7ffffe, v1
	v_cvt_u32_f32_e32 v1, v1
	v_addc_co_u32_e64 v2, s[0:1], v0, v3, vcc
	s_cselect_b64 s[2:3], -1, 0
	s_sub_i32 s0, 0, s29
	v_mul_lo_u32 v3, s0, v1
	v_mul_hi_u32 v3, v1, v3
	v_sub_u32_e32 v2, v4, v2
	v_add_u32_e32 v1, v1, v3
	v_mul_hi_u32 v1, v2, v1
	v_mul_lo_u32 v3, v1, s29
	v_sub_u32_e32 v2, v2, v3
	v_add_u32_e32 v4, 1, v1
	v_cmp_le_u32_e64 s[0:1], s29, v2
	v_subrev_u32_e32 v3, s29, v2
	v_cndmask_b32_e64 v1, v1, v4, s[0:1]
	v_cndmask_b32_e64 v2, v2, v3, s[0:1]
	v_add_u32_e32 v3, 1, v1
	v_cmp_le_u32_e64 s[0:1], s29, v2
	v_cndmask_b32_e64 v3, v1, v3, s[0:1]
	v_addc_co_u32_e64 v1, s[0:1], 1, v3, vcc
	v_cmp_lt_u32_e64 s[0:1], 3, v1
	s_and_b64 s[0:1], s[0:1], s[2:3]
	s_mov_b64 s[2:3], -1
	v_mov_b32_e32 v2, v0
	s_and_saveexec_b64 s[20:21], s[0:1]
	s_cbranch_execz .LBB0_9
; %bb.1:
	v_addc_co_u32_e32 v2, vcc, 0, v3, vcc
	v_add_u32_e32 v2, -3, v2
	v_lshrrev_b32_e32 v3, 2, v2
	v_add_u32_e32 v8, 1, v3
	v_cmp_lt_u32_e32 vcc, 27, v2
	v_mov_b32_e32 v11, 0
	s_and_saveexec_b64 s[22:23], vcc
	s_cbranch_execz .LBB0_5
; %bb.2:
	s_mov_b32 s0, 0
	s_mov_b32 s2, s0
	;; [unrolled: 1-line block ×4, first 2 shown]
	v_pk_mov_b32 v[4:5], s[2:3], s[2:3] op_sel:[0,1]
	v_and_b32_e32 v9, 0x7ffffff8, v8
	v_lshlrev_b32_e32 v10, 1, v0
	s_mov_b64 s[24:25], 0
	v_pk_mov_b32 v[2:3], s[0:1], s[0:1] op_sel:[0,1]
	v_pk_mov_b32 v[6:7], s[0:1], s[0:1] op_sel:[0,1]
.LBB0_3:                                ; =>This Inner Loop Header: Depth=1
	v_add_u32_e32 v9, -8, v9
	s_add_i32 s0, s0, 32
	v_cmp_eq_u32_e32 vcc, 0, v9
	ds_write_b128 v10, v[2:5]
	ds_write_b128 v10, v[2:5] offset:16
	ds_write_b128 v10, v[2:5] offset:32
	ds_write2_b64 v10, v[6:7], v[6:7] offset0:6 offset1:7
	v_add_u32_e32 v10, 64, v10
	s_or_b64 s[24:25], vcc, s[24:25]
	v_mov_b32_e32 v11, s0
	s_andn2_b64 exec, exec, s[24:25]
	s_cbranch_execnz .LBB0_3
; %bb.4:
	s_or_b64 exec, exec, s[24:25]
.LBB0_5:
	s_or_b64 exec, exec, s[22:23]
	v_and_b32_e32 v4, 7, v8
	v_cmp_ne_u32_e32 vcc, 0, v4
	s_and_saveexec_b64 s[0:1], vcc
	s_cbranch_execz .LBB0_8
; %bb.6:
	v_mov_b32_e32 v2, 0
	v_add_lshl_u32 v5, v0, v11, 1
	s_mov_b64 s[2:3], 0
	v_mov_b32_e32 v3, v2
.LBB0_7:                                ; =>This Inner Loop Header: Depth=1
	v_add_u32_e32 v4, -1, v4
	v_cmp_eq_u32_e32 vcc, 0, v4
	ds_write_b64 v5, v[2:3]
	s_or_b64 s[2:3], vcc, s[2:3]
	v_add_u32_e32 v5, 8, v5
	s_andn2_b64 exec, exec, s[2:3]
	s_cbranch_execnz .LBB0_7
.LBB0_8:
	s_or_b64 exec, exec, s[0:1]
	v_and_b32_e32 v3, -4, v1
	v_cmp_ne_u32_e32 vcc, v1, v3
	v_add_u32_e32 v2, v0, v3
	s_orn2_b64 s[2:3], vcc, exec
.LBB0_9:
	s_or_b64 exec, exec, s[20:21]
	s_load_dwordx8 s[20:27], s[4:5], 0x0
	s_mul_hi_u32 s5, s9, s31
	s_and_saveexec_b64 s[0:1], s[2:3]
	s_cbranch_execz .LBB0_12
; %bb.10:
	v_lshlrev_b32_e32 v1, 1, v2
	s_lshl_b32 s4, s29, 1
	s_mov_b64 s[2:3], 0
	v_mov_b32_e32 v3, 0
	s_movk_i32 s31, 0x303b
.LBB0_11:                               ; =>This Inner Loop Header: Depth=1
	v_add_u32_e32 v2, s29, v2
	v_cmp_lt_u32_e32 vcc, s31, v2
	ds_write_b16 v1, v3
	s_or_b64 s[2:3], vcc, s[2:3]
	v_add_u32_e32 v1, s4, v1
	s_andn2_b64 exec, exec, s[2:3]
	s_cbranch_execnz .LBB0_11
.LBB0_12:
	s_or_b64 exec, exec, s[0:1]
	v_lshrrev_b32_e32 v1, 6, v0
	s_ashr_i32 s29, s28, 31
	s_ashr_i32 s0, s30, 31
	v_readfirstlane_b32 s4, v1
	s_cmp_lt_i32 s4, 45
	s_waitcnt lgkmcnt(0)
	s_barrier
	s_cbranch_scc0 .LBB0_25
; %bb.13:
	s_mul_i32 s1, s5, s7
	s_sub_i32 s1, s9, s1
	s_xor_b32 s0, s29, s0
	s_add_i32 s2, s5, 1
	s_sub_i32 s3, s1, s7
	s_cmp_ge_u32 s1, s7
	s_cselect_b32 s2, s2, s5
	s_cselect_b32 s1, s3, s1
	s_add_i32 s3, s2, 1
	s_cmp_ge_u32 s1, s7
	s_cselect_b32 s1, s3, s2
	s_xor_b32 s1, s1, s0
	s_sub_i32 s0, s1, s0
	s_mul_i32 s1, s6, s12
	s_add_i32 s0, s0, s1
	s_mul_i32 s0, s0, s13
	s_add_i32 s0, s0, s8
	s_mul_i32 s1, s15, s14
	s_mul_i32 s0, s1, s0
	s_ashr_i32 s1, s0, 31
	s_lshl_b64 s[0:1], s[0:1], 1
	s_add_u32 s0, s20, s0
	v_and_b32_e32 v1, 63, v0
	s_addc_u32 s1, s21, s1
	v_lshlrev_b32_e32 v2, 2, v1
	s_mul_i32 s2, s4, s15
	s_add_i32 s7, s4, -4
	s_mul_i32 s9, s4, 0xa8
	v_cmp_gt_u32_e32 vcc, 40, v1
	v_lshl_add_u32 v3, s2, 1, v2
	s_lshl_b32 s5, s15, 3
	s_add_i32 s12, s9, 0x154
	s_mov_b32 s13, s7
	s_branch .LBB0_15
.LBB0_14:                               ;   in Loop: Header=BB0_15 Depth=1
	s_or_b64 exec, exec, s[2:3]
	s_add_i32 s13, s13, 4
	s_addk_i32 s12, 0x2a0
	s_cmp_gt_i32 s13, 40
	v_add_u32_e32 v3, s5, v3
	s_cbranch_scc1 .LBB0_17
.LBB0_15:                               ; =>This Inner Loop Header: Depth=1
	s_and_saveexec_b64 s[2:3], vcc
	s_cbranch_execz .LBB0_14
; %bb.16:                               ;   in Loop: Header=BB0_15 Depth=1
	v_readfirstlane_b32 s20, v1
	s_lshl_b32 s20, s20, 2
	s_add_i32 s20, s12, s20
	;;#ASMSTART
	s_mov_b32 m0, s20
	s_nop 1

	;;#ASMEND
	;;#ASMSTART
	global_load_lds_dword v3, s[0:1] offset:0
	;;#ASMEND
	s_branch .LBB0_14
.LBB0_17:
	s_add_i32 s2, s4, s14
	s_mul_i32 s2, s15, s2
	s_add_i32 s12, s9, 0x217c
	v_lshl_add_u32 v3, s2, 1, v2
	s_mov_b32 s13, s7
	s_branch .LBB0_19
.LBB0_18:                               ;   in Loop: Header=BB0_19 Depth=1
	s_or_b64 exec, exec, s[2:3]
	s_add_i32 s13, s13, 4
	s_addk_i32 s12, 0x2a0
	s_cmp_lt_i32 s13, 41
	v_add_u32_e32 v3, s5, v3
	s_cbranch_scc0 .LBB0_21
.LBB0_19:                               ; =>This Inner Loop Header: Depth=1
	s_and_saveexec_b64 s[2:3], vcc
	s_cbranch_execz .LBB0_18
; %bb.20:                               ;   in Loop: Header=BB0_19 Depth=1
	v_readfirstlane_b32 s20, v1
	s_lshl_b32 s20, s20, 2
	s_add_i32 s20, s12, s20
	;;#ASMSTART
	s_mov_b32 m0, s20
	s_nop 1

	;;#ASMEND
	;;#ASMSTART
	global_load_lds_dword v3, s[0:1] offset:0
	;;#ASMEND
	s_branch .LBB0_18
.LBB0_21:
	s_lshl_b32 s2, s14, 1
	s_add_i32 s4, s4, s2
	s_mul_i32 s2, s15, s4
	s_addk_i32 s9, 0x41a4
	v_lshl_add_u32 v2, s2, 1, v2
	s_branch .LBB0_23
.LBB0_22:                               ;   in Loop: Header=BB0_23 Depth=1
	s_or_b64 exec, exec, s[2:3]
	s_add_i32 s7, s7, 4
	s_addk_i32 s9, 0x2a0
	s_cmp_lt_i32 s7, 41
	v_add_u32_e32 v2, s5, v2
	s_cbranch_scc0 .LBB0_25
.LBB0_23:                               ; =>This Inner Loop Header: Depth=1
	s_and_saveexec_b64 s[2:3], vcc
	s_cbranch_execz .LBB0_22
; %bb.24:                               ;   in Loop: Header=BB0_23 Depth=1
	v_readfirstlane_b32 s4, v1
	s_lshl_b32 s4, s4, 2
	s_add_i32 s4, s9, s4
	;;#ASMSTART
	s_mov_b32 m0, s4
	s_nop 1

	;;#ASMEND
	;;#ASMSTART
	global_load_lds_dword v2, s[0:1] offset:0
	;;#ASMEND
	s_branch .LBB0_22
.LBB0_25:
	s_mul_i32 s0, s28, 0x4b
	s_ashr_i32 s1, s0, 31
	s_lshl_b64 s[0:1], s[0:1], 1
	s_add_u32 s0, s24, s0
	s_addc_u32 s1, s25, s1
	v_mov_b32_e32 v38, 0
	global_load_dwordx4 v[34:37], v38, s[0:1]
	global_load_dwordx4 v[30:33], v38, s[0:1] offset:16
	global_load_dwordx4 v[26:29], v38, s[0:1] offset:32
	;; [unrolled: 1-line block ×8, first 2 shown]
	global_load_dword v1, v38, s[0:1] offset:144
	global_load_ushort v78, v38, s[0:1] offset:148
	s_mov_b64 s[0:1], 0
	s_cmp_lg_u64 s[26:27], 0
	v_mov_b32_e32 v39, 0
	s_cbranch_scc0 .LBB0_27
; %bb.26:
	s_lshl_b64 s[2:3], s[28:29], 1
	s_add_u32 s2, s26, s2
	s_addc_u32 s3, s27, s3
	v_mov_b32_e32 v39, 0
	global_load_ushort v39, v39, s[2:3]
	s_waitcnt vmcnt(0)
	v_lshlrev_b32_e32 v39, 16, v39
.LBB0_27:
	s_mul_i32 s2, s6, s16
	s_add_i32 s2, s2, s28
	s_mul_i32 s2, s2, s17
	s_add_i32 s2, s2, s8
	s_mul_i32 s3, s19, s18
	s_mul_i32 s2, s3, s2
	s_ashr_i32 s3, s2, 31
	s_lshl_b64 s[2:3], s[2:3], 1
	;;#ASMSTART
	s_waitcnt vmcnt(0)

	;;#ASMEND
	v_mov_b32_e32 v77, 0xffff
	s_add_u32 s4, s22, s2
	s_waitcnt vmcnt(10)
	v_lshlrev_b32_e32 v40, 16, v34
	v_bfi_b32 v34, v77, 0, v34
	v_lshlrev_b32_e32 v41, 16, v35
	v_bfi_b32 v35, v77, 0, v35
	v_lshlrev_b32_e32 v42, 16, v36
	v_bfi_b32 v36, v77, 0, v36
	v_lshlrev_b32_e32 v43, 16, v37
	v_bfi_b32 v37, v77, 0, v37
	s_waitcnt vmcnt(9)
	v_lshlrev_b32_e32 v44, 16, v30
	v_bfi_b32 v30, v77, 0, v30
	v_lshlrev_b32_e32 v45, 16, v31
	v_bfi_b32 v31, v77, 0, v31
	v_lshlrev_b32_e32 v46, 16, v32
	v_bfi_b32 v32, v77, 0, v32
	v_lshlrev_b32_e32 v47, 16, v33
	v_bfi_b32 v33, v77, 0, v33
	;; [unrolled: 9-line block ×9, first 2 shown]
	s_waitcnt vmcnt(1)
	v_lshlrev_b32_e32 v76, 16, v1
	v_bfi_b32 v77, v77, 0, v1
	s_waitcnt vmcnt(0)
	v_lshlrev_b32_e32 v78, 16, v78
	s_addc_u32 s5, s23, s3
	v_lshlrev_b32_e32 v79, 1, v0
	s_mov_b32 s6, 0xcccd
	s_movk_i32 s7, 0xa8
	s_mov_b32 s8, 0x7f800000
	s_movk_i32 s9, 0x7fff
	s_movk_i32 s12, 0xe0f
	s_barrier
	s_branch .LBB0_29
.LBB0_28:                               ;   in Loop: Header=BB0_29 Depth=1
	s_or_b64 exec, exec, s[2:3]
	s_load_dword s2, s[10:11], 0xc
	global_store_short_d16_hi v[0:1], v80, off offset:2
	s_waitcnt lgkmcnt(0)
	s_and_b32 s2, s2, 0xffff
	v_lshl_add_u32 v79, s2, 1, v79
	v_cmp_lt_u32_e32 vcc, s12, v79
	s_or_b64 s[0:1], vcc, s[0:1]
	s_andn2_b64 exec, exec, s[0:1]
	s_cbranch_execz .LBB0_37
.LBB0_29:                               ; =>This Inner Loop Header: Depth=1
	v_mul_u32_u24_sdwa v0, v79, s6 dst_sel:DWORD dst_unused:UNUSED_PAD src0_sel:WORD_0 src1_sel:DWORD
	v_lshrrev_b32_e32 v1, 22, v0
	v_mul_lo_u16_e32 v0, 0x50, v1
	v_sub_u16_e32 v0, v79, v0
	v_lshlrev_b32_e32 v80, 1, v0
	v_mad_u32_u24 v80, v1, s7, v80
	;;#ASMSTART
	ds_read_b32 v95, v80 offset:0
	;;#ASMEND
	;;#ASMSTART
	ds_read_b32 v96, v80 offset:4
	;;#ASMEND
	;; [unrolled: 3-line block ×45, first 2 shown]
	;;#ASMSTART
	s_waitcnt lgkmcnt(0)

	;;#ASMEND
	; sched_barrier mask(0x00000000)
	v_mov_b32_e32 v155, v39
	v_lshlrev_b32_e32 v115, 16, v95
	;;#ASMSTART
	v_fmac_f32 v155, v40, v115
	;;#ASMEND
	v_and_b32_e32 v151, 0xffff0000, v95
	;;#ASMSTART
	v_fmac_f32 v155, v34, v151
	;;#ASMEND
	v_lshlrev_b32_e32 v152, 16, v96
	;;#ASMSTART
	v_fmac_f32 v155, v41, v152
	;;#ASMEND
	v_and_b32_e32 v153, 0xffff0000, v96
	;;#ASMSTART
	v_fmac_f32 v155, v35, v153
	;;#ASMEND
	v_lshlrev_b32_e32 v154, 16, v94
	;;#ASMSTART
	v_fmac_f32 v155, v42, v154
	;;#ASMEND
	v_lshlrev_b32_e32 v95, 16, v97
	;;#ASMSTART
	v_fmac_f32 v155, v36, v95
	;;#ASMEND
	v_and_b32_e32 v147, 0xffff0000, v97
	;;#ASMSTART
	v_fmac_f32 v155, v43, v147
	;;#ASMEND
	v_lshlrev_b32_e32 v148, 16, v98
	;;#ASMSTART
	v_fmac_f32 v155, v37, v148
	;;#ASMEND
	v_and_b32_e32 v149, 0xffff0000, v98
	;;#ASMSTART
	v_fmac_f32 v155, v44, v149
	;;#ASMEND
	v_lshlrev_b32_e32 v150, 16, v93
	;;#ASMSTART
	v_fmac_f32 v155, v30, v150
	;;#ASMEND
	;; [unrolled: 20-line block ×15, first 2 shown]
	v_and_b32_e32 v156, 0x7f800000, v155
	v_cmp_ne_u32_e32 vcc, s8, v156
                                        ; implicit-def: $vgpr156
	s_and_saveexec_b64 s[2:3], vcc
	s_xor_b64 s[2:3], exec, s[2:3]
; %bb.30:                               ;   in Loop: Header=BB0_29 Depth=1
	v_bfe_u32 v156, v155, 16, 1
	v_add3_u32 v156, v155, v156, s9
                                        ; implicit-def: $vgpr155
; %bb.31:                               ;   in Loop: Header=BB0_29 Depth=1
	s_andn2_saveexec_b64 s[2:3], s[2:3]
; %bb.32:                               ;   in Loop: Header=BB0_29 Depth=1
	v_or_b32_e32 v156, 0x10000, v155
	v_cmp_eq_u32_sdwa vcc, v155, v38 src0_sel:WORD_0 src1_sel:DWORD
	v_cndmask_b32_e32 v156, v156, v155, vcc
; %bb.33:                               ;   in Loop: Header=BB0_29 Depth=1
	s_or_b64 exec, exec, s[2:3]
	v_mad_u64_u32 v[0:1], s[2:3], v1, s19, v[0:1]
	v_ashrrev_i32_e32 v1, 31, v0
	v_lshlrev_b64 v[0:1], 1, v[0:1]
	v_mov_b32_e32 v155, s5
	v_add_co_u32_e32 v0, vcc, s4, v0
	v_addc_co_u32_e32 v1, vcc, v155, v1, vcc
	v_mov_b32_e32 v155, v39
	global_store_short_d16_hi v[0:1], v156, off
	;;#ASMSTART
	v_fmac_f32 v155, v40, v151
	;;#ASMEND
	;;#ASMSTART
	v_fmac_f32 v155, v34, v152
	;;#ASMEND
	;;#ASMSTART
	v_fmac_f32 v155, v41, v153
	;;#ASMEND
	;;#ASMSTART
	v_fmac_f32 v155, v35, v154
	;;#ASMEND
	v_and_b32_e32 v94, 0xffff0000, v94
	;;#ASMSTART
	v_fmac_f32 v155, v42, v94
	;;#ASMEND
	;;#ASMSTART
	v_fmac_f32 v155, v36, v147
	;;#ASMEND
	;;#ASMSTART
	v_fmac_f32 v155, v43, v148
	;;#ASMEND
	;;#ASMSTART
	v_fmac_f32 v155, v37, v149
	;;#ASMEND
	;;#ASMSTART
	v_fmac_f32 v155, v44, v150
	;;#ASMEND
	v_and_b32_e32 v93, 0xffff0000, v93
	;;#ASMSTART
	v_fmac_f32 v155, v30, v93
	;;#ASMEND
	;; [unrolled: 16-line block ×15, first 2 shown]
	v_and_b32_e32 v80, 0x7f800000, v155
	v_cmp_ne_u32_e32 vcc, s8, v80
                                        ; implicit-def: $vgpr80
	s_and_saveexec_b64 s[2:3], vcc
	s_xor_b64 s[2:3], exec, s[2:3]
; %bb.34:                               ;   in Loop: Header=BB0_29 Depth=1
	v_bfe_u32 v80, v155, 16, 1
	v_add3_u32 v80, v155, v80, s9
                                        ; implicit-def: $vgpr155
; %bb.35:                               ;   in Loop: Header=BB0_29 Depth=1
	s_andn2_saveexec_b64 s[2:3], s[2:3]
	s_cbranch_execz .LBB0_28
; %bb.36:                               ;   in Loop: Header=BB0_29 Depth=1
	v_or_b32_e32 v80, 0x10000, v155
	v_cmp_eq_u32_sdwa vcc, v155, v38 src0_sel:WORD_0 src1_sel:DWORD
	v_cndmask_b32_e32 v80, v80, v155, vcc
	s_branch .LBB0_28
.LBB0_37:
	s_endpgm
	.section	.rodata,"a",@progbits
	.p2align	6, 0x0
	.amdhsa_kernel miopen_conv3d_depthwise_fwd
		.amdhsa_group_segment_fixed_size 32576
		.amdhsa_private_segment_fixed_size 0
		.amdhsa_kernarg_size 320
		.amdhsa_user_sgpr_count 6
		.amdhsa_user_sgpr_private_segment_buffer 1
		.amdhsa_user_sgpr_dispatch_ptr 0
		.amdhsa_user_sgpr_queue_ptr 0
		.amdhsa_user_sgpr_kernarg_segment_ptr 1
		.amdhsa_user_sgpr_dispatch_id 0
		.amdhsa_user_sgpr_flat_scratch_init 0
		.amdhsa_user_sgpr_kernarg_preload_length 0
		.amdhsa_user_sgpr_kernarg_preload_offset 0
		.amdhsa_user_sgpr_private_segment_size 0
		.amdhsa_uses_dynamic_stack 0
		.amdhsa_system_sgpr_private_segment_wavefront_offset 0
		.amdhsa_system_sgpr_workgroup_id_x 1
		.amdhsa_system_sgpr_workgroup_id_y 1
		.amdhsa_system_sgpr_workgroup_id_z 1
		.amdhsa_system_sgpr_workgroup_info 0
		.amdhsa_system_vgpr_workitem_id 0
		.amdhsa_next_free_vgpr 166
		.amdhsa_next_free_sgpr 32
		.amdhsa_accum_offset 168
		.amdhsa_reserve_vcc 1
		.amdhsa_reserve_flat_scratch 0
		.amdhsa_float_round_mode_32 0
		.amdhsa_float_round_mode_16_64 0
		.amdhsa_float_denorm_mode_32 3
		.amdhsa_float_denorm_mode_16_64 3
		.amdhsa_dx10_clamp 1
		.amdhsa_ieee_mode 1
		.amdhsa_fp16_overflow 0
		.amdhsa_tg_split 0
		.amdhsa_exception_fp_ieee_invalid_op 0
		.amdhsa_exception_fp_denorm_src 0
		.amdhsa_exception_fp_ieee_div_zero 0
		.amdhsa_exception_fp_ieee_overflow 0
		.amdhsa_exception_fp_ieee_underflow 0
		.amdhsa_exception_fp_ieee_inexact 0
		.amdhsa_exception_int_div_zero 0
	.end_amdhsa_kernel
	.text
.Lfunc_end0:
	.size	miopen_conv3d_depthwise_fwd, .Lfunc_end0-miopen_conv3d_depthwise_fwd
                                        ; -- End function
	.section	.AMDGPU.csdata,"",@progbits
; Kernel info:
; codeLenInByte = 4316
; NumSgprs: 36
; NumVgprs: 166
; NumAgprs: 0
; TotalNumVgprs: 166
; ScratchSize: 0
; MemoryBound: 0
; FloatMode: 240
; IeeeMode: 1
; LDSByteSize: 32576 bytes/workgroup (compile time only)
; SGPRBlocks: 4
; VGPRBlocks: 20
; NumSGPRsForWavesPerEU: 36
; NumVGPRsForWavesPerEU: 166
; AccumOffset: 168
; Occupancy: 2
; WaveLimiterHint : 0
; COMPUTE_PGM_RSRC2:SCRATCH_EN: 0
; COMPUTE_PGM_RSRC2:USER_SGPR: 6
; COMPUTE_PGM_RSRC2:TRAP_HANDLER: 0
; COMPUTE_PGM_RSRC2:TGID_X_EN: 1
; COMPUTE_PGM_RSRC2:TGID_Y_EN: 1
; COMPUTE_PGM_RSRC2:TGID_Z_EN: 1
; COMPUTE_PGM_RSRC2:TIDIG_COMP_CNT: 0
; COMPUTE_PGM_RSRC3_GFX90A:ACCUM_OFFSET: 41
; COMPUTE_PGM_RSRC3_GFX90A:TG_SPLIT: 0
	.text
	.p2alignl 6, 3212836864
	.fill 256, 4, 3212836864
	.type	__hip_cuid_fe385d8684838713,@object ; @__hip_cuid_fe385d8684838713
	.section	.bss,"aw",@nobits
	.globl	__hip_cuid_fe385d8684838713
__hip_cuid_fe385d8684838713:
	.byte	0                               ; 0x0
	.size	__hip_cuid_fe385d8684838713, 1

	.ident	"AMD clang version 19.0.0git (https://github.com/RadeonOpenCompute/llvm-project roc-6.4.0 25133 c7fe45cf4b819c5991fe208aaa96edf142730f1d)"
	.section	".note.GNU-stack","",@progbits
	.addrsig
	.addrsig_sym __hip_cuid_fe385d8684838713
	.amdgpu_metadata
---
amdhsa.kernels:
  - .agpr_count:     0
    .args:
      - .address_space:  global
        .offset:         0
        .size:           8
        .value_kind:     global_buffer
      - .actual_access:  write_only
        .address_space:  global
        .offset:         8
        .size:           8
        .value_kind:     global_buffer
      - .actual_access:  read_only
        .address_space:  global
        .offset:         16
        .size:           8
        .value_kind:     global_buffer
      - .actual_access:  read_only
        .address_space:  global
        .offset:         24
        .size:           8
        .value_kind:     global_buffer
      - .offset:         32
        .size:           4
        .value_kind:     by_value
      - .offset:         36
        .size:           4
        .value_kind:     by_value
      - .offset:         40
        .size:           4
        .value_kind:     by_value
      - .offset:         44
        .size:           4
        .value_kind:     by_value
      - .offset:         48
        .size:           4
        .value_kind:     by_value
      - .offset:         52
        .size:           4
        .value_kind:     by_value
      - .offset:         56
        .size:           4
        .value_kind:     by_value
      - .offset:         60
        .size:           4
        .value_kind:     by_value
      - .offset:         64
        .size:           4
        .value_kind:     hidden_block_count_x
      - .offset:         68
        .size:           4
        .value_kind:     hidden_block_count_y
      - .offset:         72
        .size:           4
        .value_kind:     hidden_block_count_z
      - .offset:         76
        .size:           2
        .value_kind:     hidden_group_size_x
      - .offset:         78
        .size:           2
        .value_kind:     hidden_group_size_y
      - .offset:         80
        .size:           2
        .value_kind:     hidden_group_size_z
      - .offset:         82
        .size:           2
        .value_kind:     hidden_remainder_x
      - .offset:         84
        .size:           2
        .value_kind:     hidden_remainder_y
      - .offset:         86
        .size:           2
        .value_kind:     hidden_remainder_z
      - .offset:         104
        .size:           8
        .value_kind:     hidden_global_offset_x
      - .offset:         112
        .size:           8
        .value_kind:     hidden_global_offset_y
      - .offset:         120
        .size:           8
        .value_kind:     hidden_global_offset_z
      - .offset:         128
        .size:           2
        .value_kind:     hidden_grid_dims
    .group_segment_fixed_size: 32576
    .kernarg_segment_align: 8
    .kernarg_segment_size: 320
    .language:       OpenCL C
    .language_version:
      - 2
      - 0
    .max_flat_workgroup_size: 256
    .name:           miopen_conv3d_depthwise_fwd
    .private_segment_fixed_size: 0
    .sgpr_count:     36
    .sgpr_spill_count: 0
    .symbol:         miopen_conv3d_depthwise_fwd.kd
    .uniform_work_group_size: 1
    .uses_dynamic_stack: false
    .vgpr_count:     166
    .vgpr_spill_count: 0
    .wavefront_size: 64
amdhsa.target:   amdgcn-amd-amdhsa--gfx90a
amdhsa.version:
  - 1
  - 2
...

	.end_amdgpu_metadata
